;; amdgpu-corpus repo=ROCm/rocFFT kind=compiled arch=gfx906 opt=O3
	.text
	.amdgcn_target "amdgcn-amd-amdhsa--gfx906"
	.amdhsa_code_object_version 6
	.protected	fft_rtc_fwd_len1452_factors_11_3_11_4_wgs_132_tpt_132_halfLds_sp_op_CI_CI_sbrr_dirReg ; -- Begin function fft_rtc_fwd_len1452_factors_11_3_11_4_wgs_132_tpt_132_halfLds_sp_op_CI_CI_sbrr_dirReg
	.globl	fft_rtc_fwd_len1452_factors_11_3_11_4_wgs_132_tpt_132_halfLds_sp_op_CI_CI_sbrr_dirReg
	.p2align	8
	.type	fft_rtc_fwd_len1452_factors_11_3_11_4_wgs_132_tpt_132_halfLds_sp_op_CI_CI_sbrr_dirReg,@function
fft_rtc_fwd_len1452_factors_11_3_11_4_wgs_132_tpt_132_halfLds_sp_op_CI_CI_sbrr_dirReg: ; @fft_rtc_fwd_len1452_factors_11_3_11_4_wgs_132_tpt_132_halfLds_sp_op_CI_CI_sbrr_dirReg
; %bb.0:
	s_load_dwordx4 s[16:19], s[4:5], 0x18
	s_load_dwordx4 s[8:11], s[4:5], 0x0
	;; [unrolled: 1-line block ×3, first 2 shown]
	v_mul_u32_u24_e32 v1, 0x1f1, v0
	v_mov_b32_e32 v5, 0
	s_waitcnt lgkmcnt(0)
	s_load_dwordx2 s[20:21], s[16:17], 0x0
	s_load_dwordx2 s[2:3], s[18:19], 0x0
	v_cmp_lt_u64_e64 s[0:1], s[10:11], 2
	v_mov_b32_e32 v27, 0
	v_add_u32_sdwa v7, s6, v1 dst_sel:DWORD dst_unused:UNUSED_PAD src0_sel:DWORD src1_sel:WORD_1
	v_mov_b32_e32 v8, v5
	s_and_b64 vcc, exec, s[0:1]
	v_mov_b32_e32 v28, 0
	s_cbranch_vccnz .LBB0_8
; %bb.1:
	s_load_dwordx2 s[0:1], s[4:5], 0x10
	s_add_u32 s6, s18, 8
	s_addc_u32 s7, s19, 0
	s_add_u32 s22, s16, 8
	s_addc_u32 s23, s17, 0
	v_mov_b32_e32 v27, 0
	s_waitcnt lgkmcnt(0)
	s_add_u32 s24, s0, 8
	v_mov_b32_e32 v28, 0
	v_mov_b32_e32 v1, v27
	s_addc_u32 s25, s1, 0
	s_mov_b64 s[26:27], 1
	v_mov_b32_e32 v2, v28
.LBB0_2:                                ; =>This Inner Loop Header: Depth=1
	s_load_dwordx2 s[28:29], s[24:25], 0x0
                                        ; implicit-def: $vgpr3_vgpr4
	s_waitcnt lgkmcnt(0)
	v_or_b32_e32 v6, s29, v8
	v_cmp_ne_u64_e32 vcc, 0, v[5:6]
	s_and_saveexec_b64 s[0:1], vcc
	s_xor_b64 s[30:31], exec, s[0:1]
	s_cbranch_execz .LBB0_4
; %bb.3:                                ;   in Loop: Header=BB0_2 Depth=1
	v_cvt_f32_u32_e32 v3, s28
	v_cvt_f32_u32_e32 v4, s29
	s_sub_u32 s0, 0, s28
	s_subb_u32 s1, 0, s29
	v_mac_f32_e32 v3, 0x4f800000, v4
	v_rcp_f32_e32 v3, v3
	v_mul_f32_e32 v3, 0x5f7ffffc, v3
	v_mul_f32_e32 v4, 0x2f800000, v3
	v_trunc_f32_e32 v4, v4
	v_mac_f32_e32 v3, 0xcf800000, v4
	v_cvt_u32_f32_e32 v4, v4
	v_cvt_u32_f32_e32 v3, v3
	v_mul_lo_u32 v6, s0, v4
	v_mul_hi_u32 v9, s0, v3
	v_mul_lo_u32 v11, s1, v3
	v_mul_lo_u32 v10, s0, v3
	v_add_u32_e32 v6, v9, v6
	v_add_u32_e32 v6, v6, v11
	v_mul_hi_u32 v9, v3, v10
	v_mul_lo_u32 v11, v3, v6
	v_mul_hi_u32 v13, v3, v6
	v_mul_hi_u32 v12, v4, v10
	v_mul_lo_u32 v10, v4, v10
	v_mul_hi_u32 v14, v4, v6
	v_add_co_u32_e32 v9, vcc, v9, v11
	v_addc_co_u32_e32 v11, vcc, 0, v13, vcc
	v_mul_lo_u32 v6, v4, v6
	v_add_co_u32_e32 v9, vcc, v9, v10
	v_addc_co_u32_e32 v9, vcc, v11, v12, vcc
	v_addc_co_u32_e32 v10, vcc, 0, v14, vcc
	v_add_co_u32_e32 v6, vcc, v9, v6
	v_addc_co_u32_e32 v9, vcc, 0, v10, vcc
	v_add_co_u32_e32 v3, vcc, v3, v6
	v_addc_co_u32_e32 v4, vcc, v4, v9, vcc
	v_mul_lo_u32 v6, s0, v4
	v_mul_hi_u32 v9, s0, v3
	v_mul_lo_u32 v10, s1, v3
	v_mul_lo_u32 v11, s0, v3
	v_add_u32_e32 v6, v9, v6
	v_add_u32_e32 v6, v6, v10
	v_mul_lo_u32 v12, v3, v6
	v_mul_hi_u32 v13, v3, v11
	v_mul_hi_u32 v14, v3, v6
	;; [unrolled: 1-line block ×3, first 2 shown]
	v_mul_lo_u32 v11, v4, v11
	v_mul_hi_u32 v9, v4, v6
	v_add_co_u32_e32 v12, vcc, v13, v12
	v_addc_co_u32_e32 v13, vcc, 0, v14, vcc
	v_mul_lo_u32 v6, v4, v6
	v_add_co_u32_e32 v11, vcc, v12, v11
	v_addc_co_u32_e32 v10, vcc, v13, v10, vcc
	v_addc_co_u32_e32 v9, vcc, 0, v9, vcc
	v_add_co_u32_e32 v6, vcc, v10, v6
	v_addc_co_u32_e32 v9, vcc, 0, v9, vcc
	v_add_co_u32_e32 v6, vcc, v3, v6
	v_addc_co_u32_e32 v9, vcc, v4, v9, vcc
	v_mad_u64_u32 v[3:4], s[0:1], v7, v9, 0
	v_mul_hi_u32 v10, v7, v6
	v_add_co_u32_e32 v11, vcc, v10, v3
	v_addc_co_u32_e32 v12, vcc, 0, v4, vcc
	v_mad_u64_u32 v[3:4], s[0:1], v8, v6, 0
	v_mad_u64_u32 v[9:10], s[0:1], v8, v9, 0
	v_add_co_u32_e32 v3, vcc, v11, v3
	v_addc_co_u32_e32 v3, vcc, v12, v4, vcc
	v_addc_co_u32_e32 v4, vcc, 0, v10, vcc
	v_add_co_u32_e32 v6, vcc, v3, v9
	v_addc_co_u32_e32 v9, vcc, 0, v4, vcc
	v_mul_lo_u32 v10, s29, v6
	v_mul_lo_u32 v11, s28, v9
	v_mad_u64_u32 v[3:4], s[0:1], s28, v6, 0
	v_add3_u32 v4, v4, v11, v10
	v_sub_u32_e32 v10, v8, v4
	v_mov_b32_e32 v11, s29
	v_sub_co_u32_e32 v3, vcc, v7, v3
	v_subb_co_u32_e64 v10, s[0:1], v10, v11, vcc
	v_subrev_co_u32_e64 v11, s[0:1], s28, v3
	v_subbrev_co_u32_e64 v10, s[0:1], 0, v10, s[0:1]
	v_cmp_le_u32_e64 s[0:1], s29, v10
	v_cndmask_b32_e64 v12, 0, -1, s[0:1]
	v_cmp_le_u32_e64 s[0:1], s28, v11
	v_cndmask_b32_e64 v11, 0, -1, s[0:1]
	v_cmp_eq_u32_e64 s[0:1], s29, v10
	v_cndmask_b32_e64 v10, v12, v11, s[0:1]
	v_add_co_u32_e64 v11, s[0:1], 2, v6
	v_addc_co_u32_e64 v12, s[0:1], 0, v9, s[0:1]
	v_add_co_u32_e64 v13, s[0:1], 1, v6
	v_addc_co_u32_e64 v14, s[0:1], 0, v9, s[0:1]
	v_subb_co_u32_e32 v4, vcc, v8, v4, vcc
	v_cmp_ne_u32_e64 s[0:1], 0, v10
	v_cmp_le_u32_e32 vcc, s29, v4
	v_cndmask_b32_e64 v10, v14, v12, s[0:1]
	v_cndmask_b32_e64 v12, 0, -1, vcc
	v_cmp_le_u32_e32 vcc, s28, v3
	v_cndmask_b32_e64 v3, 0, -1, vcc
	v_cmp_eq_u32_e32 vcc, s29, v4
	v_cndmask_b32_e32 v3, v12, v3, vcc
	v_cmp_ne_u32_e32 vcc, 0, v3
	v_cndmask_b32_e64 v3, v13, v11, s[0:1]
	v_cndmask_b32_e32 v4, v9, v10, vcc
	v_cndmask_b32_e32 v3, v6, v3, vcc
.LBB0_4:                                ;   in Loop: Header=BB0_2 Depth=1
	s_andn2_saveexec_b64 s[0:1], s[30:31]
	s_cbranch_execz .LBB0_6
; %bb.5:                                ;   in Loop: Header=BB0_2 Depth=1
	v_cvt_f32_u32_e32 v3, s28
	s_sub_i32 s30, 0, s28
	v_rcp_iflag_f32_e32 v3, v3
	v_mul_f32_e32 v3, 0x4f7ffffe, v3
	v_cvt_u32_f32_e32 v3, v3
	v_mul_lo_u32 v4, s30, v3
	v_mul_hi_u32 v4, v3, v4
	v_add_u32_e32 v3, v3, v4
	v_mul_hi_u32 v3, v7, v3
	v_mul_lo_u32 v4, v3, s28
	v_add_u32_e32 v6, 1, v3
	v_sub_u32_e32 v4, v7, v4
	v_subrev_u32_e32 v9, s28, v4
	v_cmp_le_u32_e32 vcc, s28, v4
	v_cndmask_b32_e32 v4, v4, v9, vcc
	v_cndmask_b32_e32 v3, v3, v6, vcc
	v_add_u32_e32 v6, 1, v3
	v_cmp_le_u32_e32 vcc, s28, v4
	v_cndmask_b32_e32 v3, v3, v6, vcc
	v_mov_b32_e32 v4, v5
.LBB0_6:                                ;   in Loop: Header=BB0_2 Depth=1
	s_or_b64 exec, exec, s[0:1]
	v_mul_lo_u32 v6, v4, s28
	v_mul_lo_u32 v11, v3, s29
	v_mad_u64_u32 v[9:10], s[0:1], v3, s28, 0
	s_load_dwordx2 s[0:1], s[22:23], 0x0
	s_load_dwordx2 s[28:29], s[6:7], 0x0
	v_add3_u32 v6, v10, v11, v6
	v_sub_co_u32_e32 v7, vcc, v7, v9
	v_subb_co_u32_e32 v6, vcc, v8, v6, vcc
	s_waitcnt lgkmcnt(0)
	v_mul_lo_u32 v8, s0, v6
	v_mul_lo_u32 v9, s1, v7
	v_mad_u64_u32 v[27:28], s[0:1], s0, v7, v[27:28]
	v_mul_lo_u32 v6, s28, v6
	v_mul_lo_u32 v10, s29, v7
	v_mad_u64_u32 v[1:2], s[0:1], s28, v7, v[1:2]
	s_add_u32 s26, s26, 1
	s_addc_u32 s27, s27, 0
	s_add_u32 s6, s6, 8
	v_add3_u32 v2, v10, v2, v6
	s_addc_u32 s7, s7, 0
	v_mov_b32_e32 v6, s10
	s_add_u32 s22, s22, 8
	v_mov_b32_e32 v7, s11
	s_addc_u32 s23, s23, 0
	v_cmp_ge_u64_e32 vcc, s[26:27], v[6:7]
	s_add_u32 s24, s24, 8
	v_add3_u32 v28, v9, v28, v8
	s_addc_u32 s25, s25, 0
	s_cbranch_vccnz .LBB0_9
; %bb.7:                                ;   in Loop: Header=BB0_2 Depth=1
	v_mov_b32_e32 v8, v4
	v_mov_b32_e32 v7, v3
	s_branch .LBB0_2
.LBB0_8:
	v_mov_b32_e32 v1, v27
	v_mov_b32_e32 v3, v7
	;; [unrolled: 1-line block ×4, first 2 shown]
.LBB0_9:
	s_load_dwordx2 s[0:1], s[4:5], 0x28
	s_lshl_b64 s[10:11], s[10:11], 3
	s_add_u32 s4, s18, s10
	s_addc_u32 s5, s19, s11
                                        ; implicit-def: $sgpr18_sgpr19
                                        ; implicit-def: $vgpr33
                                        ; implicit-def: $vgpr35
                                        ; implicit-def: $vgpr34
                                        ; implicit-def: $vgpr39
	s_waitcnt lgkmcnt(0)
	v_cmp_gt_u64_e32 vcc, s[0:1], v[3:4]
	v_cmp_le_u64_e64 s[0:1], s[0:1], v[3:4]
	s_and_saveexec_b64 s[6:7], s[0:1]
	s_xor_b64 s[0:1], exec, s[6:7]
; %bb.10:
	s_mov_b32 s6, 0x1f07c20
	v_mul_hi_u32 v5, v0, s6
	s_mov_b64 s[18:19], 0
                                        ; implicit-def: $vgpr27_vgpr28
	v_mul_u32_u24_e32 v5, 0x84, v5
	v_sub_u32_e32 v33, v0, v5
	v_add_u32_e32 v35, 0x84, v33
	v_add_u32_e32 v34, 0x108, v33
	;; [unrolled: 1-line block ×3, first 2 shown]
                                        ; implicit-def: $vgpr0
; %bb.11:
	s_or_saveexec_b64 s[6:7], s[0:1]
	v_mov_b32_e32 v17, s18
	v_mov_b32_e32 v18, s19
                                        ; implicit-def: $vgpr24
                                        ; implicit-def: $vgpr20
                                        ; implicit-def: $vgpr14
                                        ; implicit-def: $vgpr10
                                        ; implicit-def: $vgpr6
                                        ; implicit-def: $vgpr8
                                        ; implicit-def: $vgpr16
                                        ; implicit-def: $vgpr22
                                        ; implicit-def: $vgpr26
                                        ; implicit-def: $vgpr12
	s_xor_b64 exec, exec, s[6:7]
	s_cbranch_execz .LBB0_13
; %bb.12:
	s_add_u32 s0, s16, s10
	s_mov_b32 s10, 0x1f07c20
	v_mul_hi_u32 v5, v0, s10
	s_addc_u32 s1, s17, s11
	s_load_dwordx2 s[0:1], s[0:1], 0x0
	v_mul_u32_u24_e32 v5, 0x84, v5
	v_sub_u32_e32 v33, v0, v5
	v_mad_u64_u32 v[5:6], s[10:11], s20, v33, 0
	s_waitcnt lgkmcnt(0)
	v_mul_lo_u32 v11, s1, v3
	v_mul_lo_u32 v12, s0, v4
	v_mad_u64_u32 v[7:8], s[0:1], s0, v3, 0
	v_mov_b32_e32 v0, v6
	v_mad_u64_u32 v[9:10], s[0:1], s21, v33, v[0:1]
	v_add3_u32 v8, v8, v12, v11
	v_lshlrev_b64 v[7:8], 3, v[7:8]
	v_mov_b32_e32 v0, s13
	v_add_co_u32_e64 v11, s[0:1], s12, v7
	v_add_u32_e32 v35, 0x84, v33
	v_mov_b32_e32 v6, v9
	v_addc_co_u32_e64 v0, s[0:1], v0, v8, s[0:1]
	v_mad_u64_u32 v[9:10], s[0:1], s20, v35, 0
	v_lshlrev_b64 v[7:8], 3, v[27:28]
	v_add_u32_e32 v34, 0x108, v33
	v_add_co_u32_e64 v13, s[0:1], v11, v7
	v_addc_co_u32_e64 v14, s[0:1], v0, v8, s[0:1]
	v_mov_b32_e32 v0, v10
	v_mad_u64_u32 v[11:12], s[0:1], s20, v34, 0
	v_mad_u64_u32 v[7:8], s[0:1], s21, v35, v[0:1]
	v_lshlrev_b64 v[5:6], 3, v[5:6]
	v_mov_b32_e32 v0, v12
	v_add_co_u32_e64 v27, s[0:1], v13, v5
	v_addc_co_u32_e64 v28, s[0:1], v14, v6, s[0:1]
	v_mov_b32_e32 v10, v7
	v_mad_u64_u32 v[7:8], s[0:1], s21, v34, v[0:1]
	v_add_u32_e32 v39, 0x18c, v33
	v_lshlrev_b64 v[5:6], 3, v[9:10]
	v_mad_u64_u32 v[8:9], s[0:1], s20, v39, 0
	v_add_co_u32_e64 v29, s[0:1], v13, v5
	v_mov_b32_e32 v0, v9
	v_addc_co_u32_e64 v30, s[0:1], v14, v6, s[0:1]
	v_mov_b32_e32 v12, v7
	v_mad_u64_u32 v[9:10], s[0:1], s21, v39, v[0:1]
	v_add_u32_e32 v7, 0x210, v33
	v_lshlrev_b64 v[5:6], 3, v[11:12]
	v_mad_u64_u32 v[10:11], s[0:1], s20, v7, 0
	v_add_co_u32_e64 v31, s[0:1], v13, v5
	v_mov_b32_e32 v0, v11
	v_addc_co_u32_e64 v32, s[0:1], v14, v6, s[0:1]
	v_lshlrev_b64 v[5:6], 3, v[8:9]
	v_mad_u64_u32 v[7:8], s[0:1], s21, v7, v[0:1]
	v_add_u32_e32 v12, 0x294, v33
	v_mad_u64_u32 v[8:9], s[0:1], s20, v12, 0
	v_add_co_u32_e64 v36, s[0:1], v13, v5
	v_mov_b32_e32 v11, v7
	v_mov_b32_e32 v0, v9
	v_addc_co_u32_e64 v37, s[0:1], v14, v6, s[0:1]
	v_lshlrev_b64 v[5:6], 3, v[10:11]
	v_mad_u64_u32 v[9:10], s[0:1], s21, v12, v[0:1]
	v_add_u32_e32 v7, 0x318, v33
	v_mad_u64_u32 v[10:11], s[0:1], s20, v7, 0
	v_add_co_u32_e64 v40, s[0:1], v13, v5
	v_mov_b32_e32 v0, v11
	v_addc_co_u32_e64 v41, s[0:1], v14, v6, s[0:1]
	v_lshlrev_b64 v[5:6], 3, v[8:9]
	v_mad_u64_u32 v[7:8], s[0:1], s21, v7, v[0:1]
	v_add_u32_e32 v12, 0x39c, v33
	v_mad_u64_u32 v[8:9], s[0:1], s20, v12, 0
	v_add_co_u32_e64 v42, s[0:1], v13, v5
	v_mov_b32_e32 v11, v7
	v_mov_b32_e32 v0, v9
	v_addc_co_u32_e64 v43, s[0:1], v14, v6, s[0:1]
	v_lshlrev_b64 v[5:6], 3, v[10:11]
	v_mad_u64_u32 v[9:10], s[0:1], s21, v12, v[0:1]
	v_add_u32_e32 v7, 0x420, v33
	;; [unrolled: 15-line block ×3, first 2 shown]
	v_mad_u64_u32 v[10:11], s[0:1], s20, v7, 0
	v_add_co_u32_e64 v48, s[0:1], v13, v5
	v_mov_b32_e32 v0, v11
	v_addc_co_u32_e64 v49, s[0:1], v14, v6, s[0:1]
	v_lshlrev_b64 v[5:6], 3, v[8:9]
	v_mad_u64_u32 v[7:8], s[0:1], s21, v7, v[0:1]
	v_add_co_u32_e64 v50, s[0:1], v13, v5
	v_mov_b32_e32 v11, v7
	v_addc_co_u32_e64 v51, s[0:1], v14, v6, s[0:1]
	v_lshlrev_b64 v[5:6], 3, v[10:11]
	v_add_co_u32_e64 v52, s[0:1], v13, v5
	v_addc_co_u32_e64 v53, s[0:1], v14, v6, s[0:1]
	global_load_dwordx2 v[17:18], v[27:28], off
	global_load_dwordx2 v[23:24], v[29:30], off
	;; [unrolled: 1-line block ×11, first 2 shown]
.LBB0_13:
	s_or_b64 exec, exec, s[6:7]
	s_waitcnt vmcnt(9)
	v_add_f32_e32 v0, v23, v17
	s_waitcnt vmcnt(8)
	v_add_f32_e32 v0, v19, v0
	;; [unrolled: 2-line block ×10, first 2 shown]
	v_add_f32_e32 v0, v23, v25
	v_mul_f32_e32 v29, 0x3f575c64, v0
	v_mul_f32_e32 v31, 0x3ed4b147, v0
	;; [unrolled: 1-line block ×5, first 2 shown]
	v_sub_f32_e32 v28, v24, v26
	v_mov_b32_e32 v30, v29
	v_mov_b32_e32 v32, v31
	;; [unrolled: 1-line block ×5, first 2 shown]
	v_fmac_f32_e32 v30, 0x3f0a6770, v28
	v_fmac_f32_e32 v29, 0xbf0a6770, v28
	;; [unrolled: 1-line block ×10, first 2 shown]
	v_add_f32_e32 v30, v30, v17
	v_add_f32_e32 v29, v29, v17
	v_add_f32_e32 v32, v32, v17
	v_add_f32_e32 v31, v31, v17
	v_add_f32_e32 v37, v37, v17
	v_add_f32_e32 v36, v36, v17
	v_add_f32_e32 v40, v40, v17
	v_add_f32_e32 v38, v38, v17
	v_add_f32_e32 v41, v41, v17
	v_add_f32_e32 v0, v0, v17
	v_add_f32_e32 v17, v19, v21
	v_sub_f32_e32 v28, v20, v22
	v_mul_f32_e32 v42, 0x3ed4b147, v17
	v_mov_b32_e32 v43, v42
	v_fmac_f32_e32 v42, 0xbf68dda4, v28
	v_fmac_f32_e32 v43, 0x3f68dda4, v28
	v_add_f32_e32 v29, v42, v29
	v_mul_f32_e32 v42, 0xbf27a4f4, v17
	v_add_f32_e32 v30, v43, v30
	v_mov_b32_e32 v43, v42
	v_fmac_f32_e32 v42, 0xbf4178ce, v28
	v_fmac_f32_e32 v43, 0x3f4178ce, v28
	v_add_f32_e32 v31, v42, v31
	v_mul_f32_e32 v42, 0xbf75a155, v17
	v_add_f32_e32 v32, v43, v32
	;; [unrolled: 6-line block ×3, first 2 shown]
	v_mov_b32_e32 v43, v42
	v_fmac_f32_e32 v42, 0x3f7d64f0, v28
	v_mul_f32_e32 v17, 0x3f575c64, v17
	v_add_f32_e32 v38, v42, v38
	v_mov_b32_e32 v42, v17
	v_fmac_f32_e32 v17, 0x3f0a6770, v28
	v_fmac_f32_e32 v42, 0xbf0a6770, v28
	v_add_f32_e32 v0, v17, v0
	v_add_f32_e32 v17, v13, v15
	v_fmac_f32_e32 v43, 0xbf7d64f0, v28
	v_add_f32_e32 v41, v42, v41
	v_sub_f32_e32 v28, v14, v16
	v_mul_f32_e32 v42, 0xbe11bafb, v17
	v_add_f32_e32 v40, v43, v40
	v_mov_b32_e32 v43, v42
	v_fmac_f32_e32 v42, 0xbf7d64f0, v28
	v_fmac_f32_e32 v43, 0x3f7d64f0, v28
	v_add_f32_e32 v29, v42, v29
	v_mul_f32_e32 v42, 0xbf75a155, v17
	v_add_f32_e32 v30, v43, v30
	v_mov_b32_e32 v43, v42
	v_fmac_f32_e32 v42, 0x3e903f40, v28
	v_fmac_f32_e32 v43, 0xbe903f40, v28
	v_add_f32_e32 v31, v42, v31
	v_mul_f32_e32 v42, 0x3ed4b147, v17
	v_add_f32_e32 v32, v43, v32
	v_mov_b32_e32 v43, v42
	v_fmac_f32_e32 v42, 0x3f68dda4, v28
	v_fmac_f32_e32 v43, 0xbf68dda4, v28
	v_add_f32_e32 v36, v42, v36
	v_mul_f32_e32 v42, 0x3f575c64, v17
	v_add_f32_e32 v37, v43, v37
	v_mov_b32_e32 v43, v42
	v_fmac_f32_e32 v42, 0xbf0a6770, v28
	v_mul_f32_e32 v17, 0xbf27a4f4, v17
	v_add_f32_e32 v38, v42, v38
	v_mov_b32_e32 v42, v17
	v_fmac_f32_e32 v17, 0xbf4178ce, v28
	v_fmac_f32_e32 v42, 0x3f4178ce, v28
	v_add_f32_e32 v0, v17, v0
	v_add_f32_e32 v17, v9, v11
	v_fmac_f32_e32 v43, 0x3f0a6770, v28
	v_add_f32_e32 v41, v42, v41
	v_sub_f32_e32 v28, v10, v12
	v_mul_f32_e32 v42, 0xbf27a4f4, v17
	v_add_f32_e32 v40, v43, v40
	v_mov_b32_e32 v43, v42
	v_fmac_f32_e32 v42, 0xbf4178ce, v28
	v_fmac_f32_e32 v43, 0x3f4178ce, v28
	v_add_f32_e32 v29, v42, v29
	v_mul_f32_e32 v42, 0xbe11bafb, v17
	v_add_f32_e32 v30, v43, v30
	v_mov_b32_e32 v43, v42
	v_fmac_f32_e32 v42, 0x3f7d64f0, v28
	v_fmac_f32_e32 v43, 0xbf7d64f0, v28
	v_add_f32_e32 v31, v42, v31
	;; [unrolled: 6-line block ×3, first 2 shown]
	v_mul_f32_e32 v42, 0xbf75a155, v17
	v_add_f32_e32 v37, v43, v37
	v_mov_b32_e32 v43, v42
	v_fmac_f32_e32 v42, 0xbe903f40, v28
	v_mul_f32_e32 v17, 0x3ed4b147, v17
	v_add_f32_e32 v38, v42, v38
	v_mov_b32_e32 v42, v17
	v_fmac_f32_e32 v42, 0xbf68dda4, v28
	v_add_f32_e32 v41, v42, v41
	v_fmac_f32_e32 v17, 0x3f68dda4, v28
	v_add_f32_e32 v42, v5, v7
	;; [unrolled: 2-line block ×3, first 2 shown]
	v_mul_f32_e32 v0, 0xbf75a155, v42
	v_add_f32_e32 v40, v43, v40
	v_sub_f32_e32 v43, v6, v8
	v_mov_b32_e32 v17, v0
	v_fmac_f32_e32 v17, 0x3e903f40, v43
	v_add_f32_e32 v30, v17, v30
	v_fmac_f32_e32 v0, 0xbe903f40, v43
	v_mul_f32_e32 v17, 0x3f575c64, v42
	v_add_f32_e32 v0, v0, v29
	v_mov_b32_e32 v29, v17
	v_fmac_f32_e32 v17, 0x3f0a6770, v43
	v_fmac_f32_e32 v29, 0xbf0a6770, v43
	v_add_f32_e32 v17, v17, v31
	v_mul_f32_e32 v31, 0xbf27a4f4, v42
	v_add_f32_e32 v29, v29, v32
	v_mov_b32_e32 v32, v31
	v_fmac_f32_e32 v31, 0xbf4178ce, v43
	v_fmac_f32_e32 v32, 0x3f4178ce, v43
	v_add_f32_e32 v31, v31, v36
	v_mul_f32_e32 v36, 0x3ed4b147, v42
	v_add_f32_e32 v32, v32, v37
	v_mov_b32_e32 v37, v36
	v_fmac_f32_e32 v36, 0x3f68dda4, v43
	v_fmac_f32_e32 v37, 0xbf68dda4, v43
	v_add_f32_e32 v36, v36, v38
	v_mul_f32_e32 v38, 0xbe11bafb, v42
	v_add_f32_e32 v37, v37, v40
	v_mov_b32_e32 v40, v38
	v_fmac_f32_e32 v40, 0x3f7d64f0, v43
	v_add_f32_e32 v40, v40, v41
	v_fmac_f32_e32 v38, 0xbf7d64f0, v43
	v_mad_u32_u24 v44, v33, 44, 0
	s_movk_i32 s0, 0xffd8
	s_load_dwordx2 s[4:5], s[4:5], 0x0
	v_add_f32_e32 v28, v38, v28
	ds_write2_b32 v44, v27, v30 offset1:1
	ds_write2_b32 v44, v29, v32 offset0:2 offset1:3
	ds_write2_b32 v44, v37, v40 offset0:4 offset1:5
	;; [unrolled: 1-line block ×4, first 2 shown]
	ds_write_b32 v44, v0 offset:40
	v_mad_i32_i24 v40, v33, s0, v44
	v_add_u32_e32 v27, 0x600, v40
	v_add_u32_e32 v29, 0xb80, v40
	v_lshl_add_u32 v37, v35, 2, 0
	v_add_u32_e32 v31, 0x1000, v40
	s_waitcnt lgkmcnt(0)
	s_barrier
	ds_read2_b32 v[27:28], v27 offset0:100 offset1:232
	ds_read2_b32 v[29:30], v29 offset0:12 offset1:232
	ds_read_b32 v41, v37
	ds_read2_b32 v[31:32], v31 offset0:76 offset1:208
	v_lshl_add_u32 v36, v34, 2, 0
	ds_read_b32 v43, v40
	ds_read_b32 v42, v36
	v_mul_i32_i24_e32 v38, 0xffffffd8, v33
	s_movk_i32 s0, 0x58
	s_mov_b32 s12, 0x3f575c64
	s_mov_b32 s10, 0x3ed4b147
	;; [unrolled: 1-line block ×5, first 2 shown]
	v_cmp_gt_u32_e64 s[0:1], s0, v33
	v_add_u32_e32 v38, v44, v38
	v_lshl_add_u32 v40, v39, 2, 0
                                        ; implicit-def: $vgpr45
	s_and_saveexec_b64 s[6:7], s[0:1]
	s_cbranch_execz .LBB0_15
; %bb.14:
	ds_read_b32 v0, v38 offset:3520
	ds_read_b32 v17, v40
	ds_read_b32 v45, v38 offset:5456
.LBB0_15:
	s_or_b64 exec, exec, s[6:7]
	v_add_f32_e32 v46, v24, v18
	v_add_f32_e32 v46, v20, v46
	v_add_f32_e32 v46, v14, v46
	v_add_f32_e32 v46, v10, v46
	v_add_f32_e32 v46, v6, v46
	v_add_f32_e32 v46, v8, v46
	v_add_f32_e32 v46, v12, v46
	v_add_f32_e32 v46, v16, v46
	v_sub_f32_e32 v23, v23, v25
	v_add_f32_e32 v46, v22, v46
	v_mul_f32_e32 v25, 0xbf0a6770, v23
	v_mul_f32_e32 v47, 0xbf68dda4, v23
	;; [unrolled: 1-line block ×5, first 2 shown]
	v_add_f32_e32 v46, v26, v46
	v_add_f32_e32 v24, v24, v26
	v_mov_b32_e32 v26, v25
	v_mov_b32_e32 v48, v47
	;; [unrolled: 1-line block ×5, first 2 shown]
	v_sub_f32_e32 v19, v19, v21
	v_fmac_f32_e32 v26, 0x3f575c64, v24
	v_fma_f32 v25, v24, s12, -v25
	v_fmac_f32_e32 v48, 0x3ed4b147, v24
	v_fma_f32 v47, v24, s10, -v47
	v_fmac_f32_e32 v50, 0xbe11bafb, v24
	v_fma_f32 v49, v24, s11, -v49
	v_fmac_f32_e32 v52, 0xbf27a4f4, v24
	v_fma_f32 v51, v24, s13, -v51
	v_fmac_f32_e32 v53, 0xbf75a155, v24
	v_fma_f32 v23, v24, s16, -v23
	v_add_f32_e32 v20, v20, v22
	v_mul_f32_e32 v21, 0xbf68dda4, v19
	v_add_f32_e32 v26, v26, v18
	v_add_f32_e32 v25, v25, v18
	;; [unrolled: 1-line block ×10, first 2 shown]
	v_mov_b32_e32 v22, v21
	v_fma_f32 v21, v20, s10, -v21
	v_mul_f32_e32 v23, 0xbf4178ce, v19
	v_fmac_f32_e32 v22, 0x3ed4b147, v20
	v_add_f32_e32 v21, v21, v25
	v_mov_b32_e32 v24, v23
	v_fma_f32 v23, v20, s13, -v23
	v_mul_f32_e32 v25, 0x3e903f40, v19
	v_add_f32_e32 v22, v22, v26
	v_add_f32_e32 v23, v23, v47
	v_mov_b32_e32 v26, v25
	v_fma_f32 v25, v20, s16, -v25
	v_mul_f32_e32 v47, 0x3f7d64f0, v19
	v_mul_f32_e32 v19, 0x3f0a6770, v19
	v_sub_f32_e32 v13, v13, v15
	v_fmac_f32_e32 v24, 0xbf27a4f4, v20
	v_add_f32_e32 v25, v25, v49
	v_mov_b32_e32 v49, v19
	v_fma_f32 v19, v20, s12, -v19
	v_add_f32_e32 v14, v14, v16
	v_mul_f32_e32 v15, 0xbf7d64f0, v13
	v_add_f32_e32 v24, v24, v48
	v_mov_b32_e32 v48, v47
	v_add_f32_e32 v18, v19, v18
	v_mov_b32_e32 v16, v15
	v_fma_f32 v15, v14, s11, -v15
	v_mul_f32_e32 v19, 0x3e903f40, v13
	v_fmac_f32_e32 v26, 0xbf75a155, v20
	v_fmac_f32_e32 v48, 0xbe11bafb, v20
	v_fma_f32 v47, v20, s11, -v47
	v_fmac_f32_e32 v49, 0x3f575c64, v20
	v_fmac_f32_e32 v16, 0xbe11bafb, v14
	v_add_f32_e32 v15, v15, v21
	v_mov_b32_e32 v20, v19
	v_fma_f32 v19, v14, s16, -v19
	v_mul_f32_e32 v21, 0x3f68dda4, v13
	v_sub_f32_e32 v9, v9, v11
	v_add_f32_e32 v16, v16, v22
	v_fmac_f32_e32 v20, 0xbf75a155, v14
	v_add_f32_e32 v19, v19, v23
	v_mov_b32_e32 v22, v21
	v_fma_f32 v21, v14, s10, -v21
	v_mul_f32_e32 v23, 0xbf0a6770, v13
	v_mul_f32_e32 v13, 0xbf4178ce, v13
	;; [unrolled: 1-line block ×3, first 2 shown]
	v_add_f32_e32 v20, v20, v24
	v_add_f32_e32 v21, v21, v25
	v_mov_b32_e32 v24, v23
	v_mov_b32_e32 v25, v13
	v_add_f32_e32 v10, v10, v12
	v_mov_b32_e32 v12, v11
	v_fmac_f32_e32 v22, 0x3ed4b147, v14
	v_fmac_f32_e32 v24, 0x3f575c64, v14
	v_fma_f32 v23, v14, s12, -v23
	v_fmac_f32_e32 v25, 0xbf27a4f4, v14
	v_fma_f32 v13, v14, s13, -v13
	;; [unrolled: 2-line block ×3, first 2 shown]
	v_mul_f32_e32 v14, 0x3f7d64f0, v9
	v_add_f32_e32 v12, v12, v16
	v_add_f32_e32 v11, v11, v15
	v_mov_b32_e32 v15, v14
	v_fma_f32 v14, v10, s11, -v14
	v_mul_f32_e32 v16, 0xbf0a6770, v9
	v_sub_f32_e32 v5, v5, v7
	v_add_f32_e32 v13, v13, v18
	v_add_f32_e32 v14, v14, v19
	v_mov_b32_e32 v18, v16
	v_fma_f32 v16, v10, s12, -v16
	v_mul_f32_e32 v19, 0xbe903f40, v9
	v_mul_f32_e32 v9, 0x3f68dda4, v9
	v_add_f32_e32 v6, v6, v8
	v_mul_f32_e32 v7, 0xbe903f40, v5
	v_fmac_f32_e32 v15, 0xbe11bafb, v10
	v_add_f32_e32 v16, v16, v21
	v_mov_b32_e32 v21, v9
	v_fma_f32 v9, v10, s10, -v9
	v_mov_b32_e32 v8, v7
	v_fma_f32 v7, v6, s16, -v7
	v_add_f32_e32 v15, v15, v20
	v_mov_b32_e32 v20, v19
	v_add_f32_e32 v9, v9, v13
	v_add_f32_e32 v13, v7, v11
	v_mul_f32_e32 v7, 0x3f0a6770, v5
	v_fmac_f32_e32 v18, 0x3f575c64, v10
	v_fmac_f32_e32 v20, 0xbf75a155, v10
	v_fma_f32 v19, v10, s16, -v19
	v_fmac_f32_e32 v21, 0x3ed4b147, v10
	v_mov_b32_e32 v10, v7
	v_fma_f32 v7, v6, s12, -v7
	v_fmac_f32_e32 v8, 0xbf75a155, v6
	v_add_f32_e32 v11, v7, v14
	v_mul_f32_e32 v7, 0xbf4178ce, v5
	v_add_f32_e32 v26, v26, v50
	v_add_f32_e32 v48, v48, v52
	;; [unrolled: 1-line block ×5, first 2 shown]
	v_fmac_f32_e32 v10, 0x3f575c64, v6
	v_mov_b32_e32 v12, v7
	v_fma_f32 v7, v6, s13, -v7
	v_mul_f32_e32 v14, 0x3f68dda4, v5
	v_mul_f32_e32 v5, 0xbf7d64f0, v5
	v_add_f32_e32 v22, v22, v26
	v_add_f32_e32 v24, v24, v48
	;; [unrolled: 1-line block ×6, first 2 shown]
	v_mov_b32_e32 v15, v14
	v_mov_b32_e32 v16, v5
	v_fma_f32 v5, v6, s11, -v5
	v_add_f32_e32 v18, v18, v22
	v_add_f32_e32 v20, v20, v24
	;; [unrolled: 1-line block ×4, first 2 shown]
	v_fmac_f32_e32 v12, 0xbf27a4f4, v6
	v_fmac_f32_e32 v15, 0x3ed4b147, v6
	v_fma_f32 v14, v6, s10, -v14
	v_fmac_f32_e32 v16, 0xbe11bafb, v6
	v_add_f32_e32 v5, v5, v9
	v_add_f32_e32 v12, v12, v18
	;; [unrolled: 1-line block ×5, first 2 shown]
	s_waitcnt lgkmcnt(0)
	s_barrier
	ds_write2_b32 v44, v46, v8 offset1:1
	ds_write2_b32 v44, v10, v12 offset0:2 offset1:3
	ds_write2_b32 v44, v15, v16 offset0:4 offset1:5
	;; [unrolled: 1-line block ×4, first 2 shown]
	ds_write_b32 v44, v13 offset:40
	v_add_u32_e32 v5, 0x600, v38
	v_add_u32_e32 v7, 0xb80, v38
	s_waitcnt lgkmcnt(0)
	s_barrier
	ds_read2_b32 v[5:6], v5 offset0:100 offset1:232
	ds_read2_b32 v[9:10], v7 offset0:12 offset1:232
	ds_read_b32 v12, v37
	v_add_u32_e32 v7, 0x1000, v38
	ds_read2_b32 v[7:8], v7 offset0:76 offset1:208
	ds_read_b32 v15, v38
	ds_read_b32 v14, v36
                                        ; implicit-def: $vgpr18
	s_and_saveexec_b64 s[6:7], s[0:1]
	s_cbranch_execz .LBB0_17
; %bb.16:
	ds_read_b32 v13, v38 offset:3520
	ds_read_b32 v11, v40
	ds_read_b32 v18, v38 offset:5456
.LBB0_17:
	s_or_b64 exec, exec, s[6:7]
	s_mov_b32 s6, 0xba2f
	v_mul_u32_u24_sdwa v16, v34, s6 dst_sel:DWORD dst_unused:UNUSED_PAD src0_sel:WORD_0 src1_sel:DWORD
	v_mul_u32_u24_sdwa v19, v39, s6 dst_sel:DWORD dst_unused:UNUSED_PAD src0_sel:WORD_0 src1_sel:DWORD
	s_movk_i32 s7, 0x75
	v_lshrrev_b32_e32 v58, 19, v16
	v_lshrrev_b32_e32 v60, 19, v19
	v_mul_lo_u16_sdwa v19, v33, s7 dst_sel:DWORD dst_unused:UNUSED_PAD src0_sel:BYTE_0 src1_sel:DWORD
	v_mul_lo_u16_e32 v16, 11, v58
	v_mul_u32_u24_sdwa v20, v35, s6 dst_sel:DWORD dst_unused:UNUSED_PAD src0_sel:WORD_0 src1_sel:DWORD
	v_sub_u16_sdwa v21, v33, v19 dst_sel:DWORD dst_unused:UNUSED_PAD src0_sel:DWORD src1_sel:BYTE_1
	v_sub_u16_e32 v59, v34, v16
	v_lshrrev_b32_e32 v62, 19, v20
	v_lshrrev_b16_e32 v20, 1, v21
	v_lshlrev_b32_e32 v16, 4, v59
	v_and_b32_e32 v20, 0x7f, v20
	global_load_dwordx4 v[23:26], v16, s[8:9]
	v_mul_lo_u16_e32 v16, 11, v60
	v_add_u16_sdwa v19, v20, v19 dst_sel:DWORD dst_unused:UNUSED_PAD src0_sel:DWORD src1_sel:BYTE_1
	v_sub_u16_e32 v61, v39, v16
	v_lshrrev_b16_e32 v19, 3, v19
	v_lshlrev_b32_e32 v16, 4, v61
	v_mul_lo_u16_e32 v20, 11, v19
	global_load_dwordx4 v[46:49], v16, s[8:9]
	v_mov_b32_e32 v16, 4
	v_sub_u16_e32 v63, v33, v20
	v_lshlrev_b32_sdwa v16, v16, v63 dst_sel:DWORD dst_unused:UNUSED_PAD src0_sel:DWORD src1_sel:BYTE_0
	global_load_dwordx4 v[50:53], v16, s[8:9]
	v_mul_lo_u16_e32 v16, 11, v62
	v_sub_u16_e32 v64, v35, v16
	v_lshlrev_b32_e32 v16, 4, v64
	global_load_dwordx4 v[54:57], v16, s[8:9]
	v_mul_u32_u24_e32 v65, 0x84, v19
	s_waitcnt vmcnt(0) lgkmcnt(0)
	s_barrier
	v_mul_f32_e32 v21, v9, v24
	v_mul_f32_e32 v19, v29, v24
	;; [unrolled: 1-line block ×4, first 2 shown]
	v_fma_f32 v21, v29, v23, -v21
	v_fmac_f32_e32 v19, v9, v23
	v_fma_f32 v22, v32, v25, -v22
	v_mul_f32_e32 v26, v13, v47
	v_mul_f32_e32 v39, v18, v49
	;; [unrolled: 1-line block ×4, first 2 shown]
	v_fmac_f32_e32 v20, v8, v25
	v_fma_f32 v8, v0, v46, -v26
	v_fma_f32 v9, v45, v48, -v39
	v_mul_f32_e32 v26, v5, v51
	v_mul_f32_e32 v39, v10, v53
	v_fmac_f32_e32 v16, v13, v46
	v_fmac_f32_e32 v24, v18, v48
	v_add_f32_e32 v13, v21, v22
	v_add_f32_e32 v18, v8, v9
	v_mul_f32_e32 v23, v27, v51
	v_mul_f32_e32 v25, v30, v53
	v_mul_f32_e32 v46, v6, v55
	v_fma_f32 v26, v27, v50, -v26
	v_fma_f32 v39, v30, v52, -v39
	v_add_f32_e32 v0, v42, v21
	v_fmac_f32_e32 v42, -0.5, v13
	v_fma_f32 v44, -0.5, v18, v17
	v_mul_f32_e32 v13, v28, v55
	v_mul_f32_e32 v47, v7, v57
	;; [unrolled: 1-line block ×3, first 2 shown]
	v_fmac_f32_e32 v23, v5, v50
	v_fmac_f32_e32 v25, v10, v52
	v_fma_f32 v5, v28, v54, -v46
	v_add_f32_e32 v10, v26, v39
	v_fmac_f32_e32 v13, v6, v54
	v_fma_f32 v6, v31, v56, -v47
	v_fmac_f32_e32 v18, v7, v56
	v_add_f32_e32 v7, v43, v26
	v_add_f32_e32 v28, v41, v5
	v_fmac_f32_e32 v43, -0.5, v10
	v_sub_f32_e32 v27, v23, v25
	v_add_f32_e32 v10, v28, v6
	v_mov_b32_e32 v28, v43
	v_sub_f32_e32 v29, v19, v20
	v_mov_b32_e32 v48, v42
	v_fmac_f32_e32 v43, 0xbf5db3d7, v27
	v_fmac_f32_e32 v28, 0x3f5db3d7, v27
	v_mov_b32_e32 v27, 2
	v_fmac_f32_e32 v42, 0xbf5db3d7, v29
	v_fmac_f32_e32 v48, 0x3f5db3d7, v29
	v_add_f32_e32 v29, v5, v6
	v_lshlrev_b32_sdwa v27, v27, v63 dst_sel:DWORD dst_unused:UNUSED_PAD src0_sel:DWORD src1_sel:BYTE_0
	v_add_f32_e32 v7, v7, v39
	v_fmac_f32_e32 v41, -0.5, v29
	v_add3_u32 v29, 0, v65, v27
	v_sub_f32_e32 v30, v13, v18
	v_mov_b32_e32 v31, v41
	ds_write2_b32 v29, v7, v28 offset1:11
	ds_write_b32 v29, v43 offset:88
	v_mul_u32_u24_e32 v7, 0x84, v62
	v_lshlrev_b32_e32 v27, 2, v64
	v_fmac_f32_e32 v41, 0xbf5db3d7, v30
	v_fmac_f32_e32 v31, 0x3f5db3d7, v30
	v_add3_u32 v30, 0, v7, v27
	v_sub_f32_e32 v32, v16, v24
	v_add_f32_e32 v45, v0, v22
	v_mov_b32_e32 v0, v44
	ds_write2_b32 v30, v10, v31 offset1:11
	ds_write_b32 v30, v41 offset:88
	v_mul_u32_u24_e32 v7, 0x84, v58
	v_lshlrev_b32_e32 v10, 2, v59
	v_fmac_f32_e32 v0, 0xbf5db3d7, v32
	v_add3_u32 v31, 0, v7, v10
	v_mul_lo_u16_e32 v27, 33, v60
	v_lshlrev_b32_e32 v28, 2, v61
	ds_write2_b32 v31, v45, v48 offset1:11
	ds_write_b32 v31, v42 offset:88
	s_and_saveexec_b64 s[6:7], s[0:1]
	s_cbranch_execz .LBB0_19
; %bb.18:
	v_mul_f32_e32 v7, 0x3f5db3d7, v32
	v_add_f32_e32 v10, v17, v8
	v_lshlrev_b32_e32 v17, 2, v27
	v_add_f32_e32 v7, v7, v44
	v_add_f32_e32 v10, v10, v9
	v_add3_u32 v17, 0, v28, v17
	ds_write2_b32 v17, v10, v7 offset1:11
	ds_write_b32 v17, v0 offset:88
.LBB0_19:
	s_or_b64 exec, exec, s[6:7]
	v_add_f32_e32 v7, v15, v23
	v_add_f32_e32 v41, v7, v25
	;; [unrolled: 1-line block ×3, first 2 shown]
	v_fmac_f32_e32 v15, -0.5, v7
	v_sub_f32_e32 v7, v26, v39
	v_mov_b32_e32 v39, v15
	v_fmac_f32_e32 v39, 0xbf5db3d7, v7
	v_fmac_f32_e32 v15, 0x3f5db3d7, v7
	v_add_f32_e32 v7, v12, v13
	v_add_f32_e32 v42, v7, v18
	;; [unrolled: 1-line block ×3, first 2 shown]
	v_fmac_f32_e32 v12, -0.5, v7
	v_sub_f32_e32 v5, v5, v6
	v_mov_b32_e32 v43, v12
	v_fmac_f32_e32 v43, 0xbf5db3d7, v5
	v_fmac_f32_e32 v12, 0x3f5db3d7, v5
	v_add_f32_e32 v5, v14, v19
	v_add_f32_e32 v44, v5, v20
	;; [unrolled: 1-line block ×3, first 2 shown]
	v_fmac_f32_e32 v14, -0.5, v5
	v_sub_f32_e32 v5, v21, v22
	s_waitcnt lgkmcnt(0)
	s_barrier
	ds_read_b32 v18, v37
	ds_read_b32 v22, v40
	ds_read_b32 v21, v38 offset:5280
	ds_read_b32 v20, v38
	ds_read_b32 v23, v36
	v_mov_b32_e32 v45, v14
	v_fmac_f32_e32 v45, 0xbf5db3d7, v5
	v_fmac_f32_e32 v14, 0x3f5db3d7, v5
	v_add_f32_e32 v5, v16, v24
	v_add_u32_e32 v25, 0x800, v38
	v_add_u32_e32 v26, 0xc00, v38
	;; [unrolled: 1-line block ×3, first 2 shown]
	v_fma_f32 v17, -0.5, v5, v11
	v_sub_f32_e32 v32, v8, v9
	ds_read2_b32 v[9:10], v25 offset0:16 offset1:148
	ds_read2_b32 v[7:8], v26 offset0:24 offset1:156
	;; [unrolled: 1-line block ×3, first 2 shown]
	v_mov_b32_e32 v19, v17
	v_fmac_f32_e32 v19, 0x3f5db3d7, v32
	s_waitcnt lgkmcnt(0)
	s_barrier
	ds_write2_b32 v29, v41, v39 offset1:11
	ds_write_b32 v29, v15 offset:88
	ds_write2_b32 v30, v42, v43 offset1:11
	ds_write_b32 v30, v12 offset:88
	;; [unrolled: 2-line block ×3, first 2 shown]
	s_and_saveexec_b64 s[6:7], s[0:1]
	s_cbranch_execz .LBB0_21
; %bb.20:
	v_mul_f32_e32 v12, 0x3f5db3d7, v32
	v_add_f32_e32 v11, v11, v16
	v_lshlrev_b32_e32 v14, 2, v27
	v_add_f32_e32 v11, v11, v24
	v_sub_f32_e32 v12, v17, v12
	v_add3_u32 v14, 0, v28, v14
	ds_write2_b32 v14, v11, v12 offset1:11
	ds_write_b32 v14, v19 offset:88
.LBB0_21:
	s_or_b64 exec, exec, s[6:7]
	s_movk_i32 s0, 0xf9
	v_mul_lo_u16_sdwa v11, v33, s0 dst_sel:DWORD dst_unused:UNUSED_PAD src0_sel:BYTE_0 src1_sel:DWORD
	v_lshrrev_b16_e32 v64, 13, v11
	v_mul_lo_u16_e32 v11, 33, v64
	v_sub_u16_e32 v65, v33, v11
	v_mov_b32_e32 v11, 10
	v_mul_u32_u24_sdwa v11, v65, v11 dst_sel:DWORD dst_unused:UNUSED_PAD src0_sel:BYTE_0 src1_sel:DWORD
	v_lshlrev_b32_e32 v11, 3, v11
	s_waitcnt lgkmcnt(0)
	s_barrier
	global_load_dwordx4 v[27:30], v11, s[8:9] offset:176
	global_load_dwordx4 v[44:47], v11, s[8:9] offset:192
	;; [unrolled: 1-line block ×5, first 2 shown]
	ds_read_b32 v17, v38
	ds_read_b32 v24, v37
	;; [unrolled: 1-line block ×3, first 2 shown]
	ds_read2_b32 v[14:15], v25 offset0:16 offset1:148
	ds_read2_b32 v[60:61], v26 offset0:24 offset1:156
	;; [unrolled: 1-line block ×3, first 2 shown]
	ds_read_b32 v26, v40
	ds_read_b32 v66, v38 offset:5280
	s_waitcnt vmcnt(0) lgkmcnt(0)
	s_barrier
	s_movk_i32 s0, 0x63
	v_cmp_gt_u32_e64 s[0:1], s0, v33
	v_mul_f32_e32 v12, v24, v28
	v_mul_f32_e32 v40, v18, v28
	;; [unrolled: 1-line block ×11, first 2 shown]
	v_fma_f32 v42, v18, v27, -v12
	v_mul_f32_e32 v12, v7, v51
	v_fmac_f32_e32 v40, v24, v27
	v_mul_f32_e32 v51, v66, v59
	v_fmac_f32_e32 v43, v66, v58
	v_mul_f32_e32 v45, v15, v49
	v_mul_f32_e32 v24, v61, v53
	v_fma_f32 v32, v23, v29, -v28
	v_fmac_f32_e32 v31, v39, v29
	v_mul_f32_e32 v49, v63, v57
	v_fma_f32 v29, v22, v44, -v30
	v_fmac_f32_e32 v25, v26, v44
	v_fmac_f32_e32 v11, v15, v48
	v_fma_f32 v15, v7, v50, -v47
	v_fma_f32 v44, v21, v58, -v51
	v_sub_f32_e32 v7, v40, v43
	v_mul_f32_e32 v18, v8, v53
	v_mul_f32_e32 v27, v62, v55
	;; [unrolled: 1-line block ×3, first 2 shown]
	v_fma_f32 v23, v9, v46, -v41
	v_fmac_f32_e32 v16, v14, v46
	v_fma_f32 v14, v10, v48, -v45
	v_fma_f32 v24, v8, v52, -v24
	;; [unrolled: 1-line block ×3, first 2 shown]
	v_add_f32_e32 v6, v42, v44
	v_mul_f32_e32 v8, 0xbf0a6770, v7
	v_mul_f32_e32 v9, 0xbf68dda4, v7
	;; [unrolled: 1-line block ×5, first 2 shown]
	v_fma_f32 v30, v5, v54, -v27
	v_fmac_f32_e32 v39, v63, v56
	v_fma_f32 v22, v6, s12, -v8
	v_fmac_f32_e32 v8, 0x3f575c64, v6
	v_fma_f32 v26, v6, s10, -v9
	v_fmac_f32_e32 v9, 0x3ed4b147, v6
	v_fma_f32 v27, v6, s11, -v10
	v_fmac_f32_e32 v10, 0xbe11bafb, v6
	v_fma_f32 v45, v6, s13, -v21
	v_fmac_f32_e32 v21, 0xbf27a4f4, v6
	v_fma_f32 v46, v6, s16, -v7
	v_fmac_f32_e32 v7, 0xbf75a155, v6
	v_mul_f32_e32 v28, v5, v55
	v_add_f32_e32 v5, v20, v42
	v_add_f32_e32 v22, v20, v22
	;; [unrolled: 1-line block ×11, first 2 shown]
	v_sub_f32_e32 v20, v31, v39
	v_add_f32_e32 v7, v32, v41
	v_mul_f32_e32 v47, 0xbf68dda4, v20
	v_fma_f32 v48, v7, s10, -v47
	v_fmac_f32_e32 v47, 0x3ed4b147, v7
	v_add_f32_e32 v8, v47, v8
	v_mul_f32_e32 v47, 0xbf4178ce, v20
	v_add_f32_e32 v22, v48, v22
	v_fma_f32 v48, v7, s13, -v47
	v_fmac_f32_e32 v47, 0xbf27a4f4, v7
	v_add_f32_e32 v9, v47, v9
	v_mul_f32_e32 v47, 0x3e903f40, v20
	v_add_f32_e32 v26, v48, v26
	;; [unrolled: 5-line block ×3, first 2 shown]
	v_fma_f32 v48, v7, s11, -v47
	v_fmac_f32_e32 v47, 0xbe11bafb, v7
	v_mul_f32_e32 v20, 0x3f0a6770, v20
	v_fmac_f32_e32 v28, v62, v54
	v_add_f32_e32 v21, v47, v21
	v_fma_f32 v47, v7, s12, -v20
	v_fmac_f32_e32 v20, 0x3f575c64, v7
	v_add_f32_e32 v6, v20, v6
	v_sub_f32_e32 v20, v25, v28
	v_add_f32_e32 v46, v47, v46
	v_add_f32_e32 v7, v29, v30
	v_mul_f32_e32 v47, 0xbf7d64f0, v20
	v_add_f32_e32 v45, v48, v45
	v_fma_f32 v48, v7, s11, -v47
	v_fmac_f32_e32 v47, 0xbe11bafb, v7
	v_add_f32_e32 v8, v47, v8
	v_mul_f32_e32 v47, 0x3e903f40, v20
	v_add_f32_e32 v22, v48, v22
	v_fma_f32 v48, v7, s16, -v47
	v_fmac_f32_e32 v47, 0xbf75a155, v7
	;; [unrolled: 5-line block ×4, first 2 shown]
	v_mul_f32_e32 v20, 0xbf4178ce, v20
	v_fmac_f32_e32 v18, v61, v52
	v_add_f32_e32 v21, v47, v21
	v_fma_f32 v47, v7, s13, -v20
	v_fmac_f32_e32 v20, 0xbf27a4f4, v7
	v_add_f32_e32 v6, v20, v6
	v_sub_f32_e32 v20, v16, v18
	v_add_f32_e32 v46, v47, v46
	v_add_f32_e32 v7, v23, v24
	v_mul_f32_e32 v47, 0xbf4178ce, v20
	v_add_f32_e32 v45, v48, v45
	v_fma_f32 v48, v7, s13, -v47
	v_fmac_f32_e32 v47, 0xbf27a4f4, v7
	v_add_f32_e32 v8, v47, v8
	v_mul_f32_e32 v47, 0x3f7d64f0, v20
	v_add_f32_e32 v22, v48, v22
	v_fma_f32 v48, v7, s11, -v47
	v_fmac_f32_e32 v47, 0xbe11bafb, v7
	;; [unrolled: 5-line block ×3, first 2 shown]
	v_add_f32_e32 v10, v47, v10
	v_mul_f32_e32 v47, 0xbe903f40, v20
	v_fmac_f32_e32 v12, v60, v50
	v_add_f32_e32 v27, v48, v27
	v_fma_f32 v48, v7, s16, -v47
	v_fmac_f32_e32 v47, 0xbf75a155, v7
	v_mul_f32_e32 v20, 0x3f68dda4, v20
	v_add_f32_e32 v45, v48, v45
	v_add_f32_e32 v47, v47, v21
	v_fma_f32 v21, v7, s10, -v20
	v_fmac_f32_e32 v20, 0x3ed4b147, v7
	v_sub_f32_e32 v48, v11, v12
	v_add_f32_e32 v6, v20, v6
	v_add_f32_e32 v7, v14, v15
	v_mul_f32_e32 v20, 0xbe903f40, v48
	v_add_f32_e32 v46, v21, v46
	v_fma_f32 v21, v7, s16, -v20
	v_fmac_f32_e32 v20, 0xbf75a155, v7
	v_add_f32_e32 v20, v20, v8
	v_mul_f32_e32 v8, 0x3f0a6770, v48
	v_add_f32_e32 v5, v5, v32
	v_add_f32_e32 v49, v21, v22
	v_fma_f32 v21, v7, s12, -v8
	v_fmac_f32_e32 v8, 0x3f575c64, v7
	v_add_f32_e32 v5, v5, v29
	v_add_f32_e32 v22, v8, v9
	v_mul_f32_e32 v8, 0xbf4178ce, v48
	v_add_f32_e32 v5, v5, v23
	v_fma_f32 v9, v7, s13, -v8
	v_fmac_f32_e32 v8, 0xbf27a4f4, v7
	v_add_f32_e32 v5, v5, v14
	v_add_f32_e32 v26, v21, v26
	;; [unrolled: 1-line block ×3, first 2 shown]
	v_mul_f32_e32 v8, 0x3f68dda4, v48
	v_add_f32_e32 v5, v5, v15
	v_add_f32_e32 v9, v9, v27
	v_fma_f32 v10, v7, s10, -v8
	v_mul_f32_e32 v27, 0xbf7d64f0, v48
	v_add_f32_e32 v5, v5, v24
	v_add_f32_e32 v10, v10, v45
	v_fma_f32 v45, v7, s11, -v27
	v_fmac_f32_e32 v27, 0xbe11bafb, v7
	v_add_f32_e32 v5, v5, v30
	v_add_f32_e32 v6, v27, v6
	v_mov_b32_e32 v27, 2
	v_add_f32_e32 v5, v5, v41
	v_fmac_f32_e32 v8, 0x3ed4b147, v7
	v_mul_u32_u24_e32 v7, 0x5ac, v64
	v_lshlrev_b32_sdwa v27, v27, v65 dst_sel:DWORD dst_unused:UNUSED_PAD src0_sel:DWORD src1_sel:BYTE_0
	v_add_f32_e32 v5, v5, v44
	v_add_f32_e32 v46, v45, v46
	v_add3_u32 v45, 0, v7, v27
	v_add_f32_e32 v8, v8, v47
	ds_write2_b32 v45, v5, v49 offset1:33
	ds_write2_b32 v45, v26, v9 offset0:66 offset1:99
	ds_write2_b32 v45, v10, v46 offset0:132 offset1:165
	;; [unrolled: 1-line block ×3, first 2 shown]
	v_add_u32_e32 v46, 0x400, v45
	v_add_u32_e32 v47, 0x400, v38
	;; [unrolled: 1-line block ×3, first 2 shown]
	ds_write2_b32 v46, v21, v22 offset0:8 offset1:41
	ds_write_b32 v45, v20 offset:1320
	s_waitcnt lgkmcnt(0)
	s_barrier
	ds_read2_b32 v[5:6], v47 offset0:107 offset1:239
	ds_read2_b32 v[7:8], v48 offset0:86 offset1:218
	ds_read2_b32 v[9:10], v13 offset0:65 offset1:197
	ds_read_b32 v27, v38
	ds_read_b32 v26, v37
	s_and_saveexec_b64 s[6:7], s[0:1]
	s_cbranch_execz .LBB0_23
; %bb.22:
	ds_read_b32 v21, v36
	ds_read_b32 v22, v38 offset:2508
	ds_read_b32 v20, v38 offset:3960
	;; [unrolled: 1-line block ×3, first 2 shown]
.LBB0_23:
	s_or_b64 exec, exec, s[6:7]
	v_add_f32_e32 v13, v17, v40
	v_add_f32_e32 v13, v13, v31
	;; [unrolled: 1-line block ×9, first 2 shown]
	v_sub_f32_e32 v42, v42, v44
	v_add_f32_e32 v13, v13, v43
	v_add_f32_e32 v40, v40, v43
	v_mul_f32_e32 v43, 0xbf0a6770, v42
	v_mul_f32_e32 v49, 0xbf68dda4, v42
	;; [unrolled: 1-line block ×5, first 2 shown]
	v_mov_b32_e32 v44, v43
	v_mov_b32_e32 v50, v49
	;; [unrolled: 1-line block ×5, first 2 shown]
	v_sub_f32_e32 v32, v32, v41
	v_fmac_f32_e32 v44, 0x3f575c64, v40
	v_fma_f32 v43, v40, s12, -v43
	v_fmac_f32_e32 v50, 0x3ed4b147, v40
	v_fma_f32 v49, v40, s10, -v49
	;; [unrolled: 2-line block ×5, first 2 shown]
	v_add_f32_e32 v31, v31, v39
	v_mul_f32_e32 v39, 0xbf68dda4, v32
	v_add_f32_e32 v44, v17, v44
	v_add_f32_e32 v43, v17, v43
	;; [unrolled: 1-line block ×10, first 2 shown]
	v_mov_b32_e32 v40, v39
	v_fma_f32 v39, v31, s10, -v39
	v_mul_f32_e32 v41, 0xbf4178ce, v32
	v_fmac_f32_e32 v40, 0x3ed4b147, v31
	v_add_f32_e32 v39, v39, v43
	v_mov_b32_e32 v42, v41
	v_fma_f32 v41, v31, s13, -v41
	v_mul_f32_e32 v43, 0x3e903f40, v32
	v_add_f32_e32 v40, v40, v44
	v_fmac_f32_e32 v42, 0xbf27a4f4, v31
	v_add_f32_e32 v41, v41, v49
	v_mov_b32_e32 v44, v43
	v_fma_f32 v43, v31, s16, -v43
	v_mul_f32_e32 v49, 0x3f7d64f0, v32
	v_mul_f32_e32 v32, 0x3f0a6770, v32
	v_add_f32_e32 v42, v42, v50
	v_add_f32_e32 v43, v43, v51
	v_mov_b32_e32 v50, v49
	v_mov_b32_e32 v51, v32
	v_add_f32_e32 v25, v25, v28
	v_sub_f32_e32 v28, v29, v30
	v_fmac_f32_e32 v44, 0xbf75a155, v31
	v_fmac_f32_e32 v50, 0xbe11bafb, v31
	v_fma_f32 v49, v31, s11, -v49
	v_fmac_f32_e32 v51, 0x3f575c64, v31
	v_fma_f32 v31, v31, s12, -v32
	v_mul_f32_e32 v29, 0xbf7d64f0, v28
	v_add_f32_e32 v17, v31, v17
	v_mov_b32_e32 v30, v29
	v_fma_f32 v29, v25, s11, -v29
	v_mul_f32_e32 v31, 0x3e903f40, v28
	v_fmac_f32_e32 v30, 0xbe11bafb, v25
	v_add_f32_e32 v29, v29, v39
	v_mov_b32_e32 v32, v31
	v_fma_f32 v31, v25, s16, -v31
	v_mul_f32_e32 v39, 0x3f68dda4, v28
	v_add_f32_e32 v30, v30, v40
	v_fmac_f32_e32 v32, 0xbf75a155, v25
	v_add_f32_e32 v31, v31, v41
	v_mov_b32_e32 v40, v39
	v_fma_f32 v39, v25, s10, -v39
	v_mul_f32_e32 v41, 0xbf0a6770, v28
	v_mul_f32_e32 v28, 0xbf4178ce, v28
	v_add_f32_e32 v32, v32, v42
	v_add_f32_e32 v39, v39, v43
	v_mov_b32_e32 v42, v41
	v_mov_b32_e32 v43, v28
	v_add_f32_e32 v16, v16, v18
	v_sub_f32_e32 v18, v23, v24
	v_fmac_f32_e32 v40, 0x3ed4b147, v25
	v_fmac_f32_e32 v42, 0x3f575c64, v25
	v_fma_f32 v41, v25, s12, -v41
	v_fmac_f32_e32 v43, 0xbf27a4f4, v25
	v_fma_f32 v25, v25, s13, -v28
	v_mul_f32_e32 v23, 0xbf4178ce, v18
	v_add_f32_e32 v17, v25, v17
	v_mov_b32_e32 v24, v23
	v_fma_f32 v23, v16, s13, -v23
	v_mul_f32_e32 v25, 0x3f7d64f0, v18
	v_fmac_f32_e32 v24, 0xbf27a4f4, v16
	v_add_f32_e32 v23, v23, v29
	v_mov_b32_e32 v28, v25
	v_fma_f32 v25, v16, s11, -v25
	v_mul_f32_e32 v29, 0xbf0a6770, v18
	v_add_f32_e32 v11, v11, v12
	v_sub_f32_e32 v12, v14, v15
	v_add_f32_e32 v24, v24, v30
	v_fmac_f32_e32 v28, 0xbe11bafb, v16
	v_add_f32_e32 v25, v25, v31
	v_mov_b32_e32 v30, v29
	v_fma_f32 v29, v16, s12, -v29
	v_mul_f32_e32 v31, 0xbe903f40, v18
	v_mul_f32_e32 v18, 0x3f68dda4, v18
	;; [unrolled: 1-line block ×3, first 2 shown]
	v_add_f32_e32 v28, v28, v32
	v_add_f32_e32 v29, v29, v39
	v_mov_b32_e32 v32, v31
	v_mov_b32_e32 v39, v18
	;; [unrolled: 1-line block ×3, first 2 shown]
	v_fma_f32 v14, v11, s16, -v14
	v_fmac_f32_e32 v30, 0x3f575c64, v16
	v_fmac_f32_e32 v32, 0xbf75a155, v16
	v_fma_f32 v31, v16, s16, -v31
	v_fmac_f32_e32 v39, 0x3ed4b147, v16
	v_fma_f32 v16, v16, s10, -v18
	v_add_f32_e32 v23, v14, v23
	v_mul_f32_e32 v14, 0x3f0a6770, v12
	v_add_f32_e32 v16, v16, v17
	v_mov_b32_e32 v17, v14
	v_fma_f32 v14, v11, s12, -v14
	v_add_f32_e32 v25, v14, v25
	v_mul_f32_e32 v14, 0xbf4178ce, v12
	v_fmac_f32_e32 v15, 0xbf75a155, v11
	v_mov_b32_e32 v18, v14
	v_fma_f32 v14, v11, s13, -v14
	v_add_f32_e32 v15, v15, v24
	v_fmac_f32_e32 v17, 0x3f575c64, v11
	v_add_f32_e32 v24, v14, v29
	v_mul_f32_e32 v14, 0x3f68dda4, v12
	v_mul_f32_e32 v12, 0xbf7d64f0, v12
	v_add_f32_e32 v44, v44, v52
	v_add_f32_e32 v50, v50, v54
	;; [unrolled: 1-line block ×5, first 2 shown]
	v_mov_b32_e32 v28, v14
	v_mov_b32_e32 v29, v12
	v_add_f32_e32 v40, v40, v44
	v_add_f32_e32 v42, v42, v50
	;; [unrolled: 1-line block ×4, first 2 shown]
	v_fmac_f32_e32 v18, 0xbf27a4f4, v11
	v_fmac_f32_e32 v28, 0x3ed4b147, v11
	v_fma_f32 v14, v11, s10, -v14
	v_fmac_f32_e32 v29, 0xbe11bafb, v11
	v_fma_f32 v11, v11, s11, -v12
	v_add_f32_e32 v30, v30, v40
	v_add_f32_e32 v32, v32, v42
	;; [unrolled: 1-line block ×9, first 2 shown]
	s_waitcnt lgkmcnt(0)
	s_barrier
	ds_write2_b32 v45, v13, v15 offset1:33
	ds_write2_b32 v45, v17, v18 offset0:66 offset1:99
	ds_write2_b32 v45, v28, v29 offset0:132 offset1:165
	;; [unrolled: 1-line block ×4, first 2 shown]
	ds_write_b32 v45, v23 offset:1320
	v_add_u32_e32 v11, 0x1000, v38
	s_waitcnt lgkmcnt(0)
	s_barrier
	ds_read2_b32 v[13:14], v47 offset0:107 offset1:239
	ds_read2_b32 v[17:18], v48 offset0:86 offset1:218
	ds_read2_b32 v[15:16], v11 offset0:65 offset1:197
	ds_read_b32 v29, v38
	ds_read_b32 v28, v37
	s_and_saveexec_b64 s[6:7], s[0:1]
	s_cbranch_execz .LBB0_25
; %bb.24:
	ds_read_b32 v24, v36
	ds_read_b32 v25, v38 offset:2508
	ds_read_b32 v23, v38 offset:3960
	;; [unrolled: 1-line block ×3, first 2 shown]
.LBB0_25:
	s_or_b64 exec, exec, s[6:7]
	s_and_saveexec_b64 s[6:7], vcc
	s_cbranch_execz .LBB0_28
; %bb.26:
	v_mul_u32_u24_e32 v11, 3, v33
	v_lshlrev_b32_e32 v11, 3, v11
	global_load_dwordx4 v[36:39], v11, s[8:9] offset:2816
	global_load_dwordx2 v[30:31], v11, s[8:9] offset:2832
	v_mul_i32_i24_e32 v11, 3, v35
	v_mov_b32_e32 v12, 0
	v_lshlrev_b64 v[40:41], 3, v[11:12]
	v_mov_b32_e32 v32, s9
	v_add_co_u32_e32 v44, vcc, s8, v40
	v_addc_co_u32_e32 v45, vcc, v32, v41, vcc
	global_load_dwordx4 v[40:43], v[44:45], off offset:2816
	global_load_dwordx2 v[46:47], v[44:45], off offset:2832
	s_mov_b32 s10, 0x691473a9
	v_mul_hi_u32 v11, v33, s10
	v_mul_lo_u32 v32, s5, v3
	v_lshlrev_b64 v[1:2], 3, v[1:2]
	v_sub_u32_e32 v35, v33, v11
	v_lshrrev_b32_e32 v35, 1, v35
	v_add_u32_e32 v11, v35, v11
	v_lshrrev_b32_e32 v11, 8, v11
	v_mul_u32_u24_e32 v11, 0x16b, v11
	v_sub_u32_e32 v50, v33, v11
	v_mad_u64_u32 v[44:45], s[6:7], s2, v50, 0
	v_mul_lo_u32 v35, s4, v4
	v_mad_u64_u32 v[3:4], s[4:5], s4, v3, 0
	v_mov_b32_e32 v11, v45
	v_mad_u64_u32 v[48:49], s[4:5], s3, v50, v[11:12]
	v_add3_u32 v4, v4, v35, v32
	v_lshlrev_b64 v[3:4], 3, v[3:4]
	v_mov_b32_e32 v45, v48
	v_add_co_u32_e32 v3, vcc, s14, v3
	s_movk_i32 s5, 0x5ac
	s_movk_i32 s4, 0x16b
	s_waitcnt vmcnt(3)
	v_mul_f32_e32 v11, v7, v39
	s_waitcnt lgkmcnt(4)
	v_mul_f32_e32 v32, v13, v37
	s_waitcnt vmcnt(2) lgkmcnt(2)
	v_mul_f32_e32 v35, v15, v31
	v_mul_f32_e32 v37, v5, v37
	;; [unrolled: 1-line block ×4, first 2 shown]
	v_fmac_f32_e32 v11, v17, v38
	v_fma_f32 v17, v5, v36, -v32
	v_fma_f32 v5, v9, v30, -v35
	v_fmac_f32_e32 v37, v13, v36
	v_fmac_f32_e32 v31, v15, v30
	s_waitcnt vmcnt(1)
	v_mul_f32_e32 v9, v8, v43
	v_mul_f32_e32 v13, v14, v41
	s_waitcnt vmcnt(0)
	v_mul_f32_e32 v15, v16, v47
	v_mul_f32_e32 v30, v18, v43
	;; [unrolled: 1-line block ×4, first 2 shown]
	v_fma_f32 v7, v7, v38, -v39
	s_waitcnt lgkmcnt(1)
	v_sub_f32_e32 v11, v29, v11
	v_sub_f32_e32 v36, v17, v5
	;; [unrolled: 1-line block ×3, first 2 shown]
	v_fmac_f32_e32 v9, v18, v42
	v_fma_f32 v18, v6, v40, -v13
	v_fma_f32 v10, v10, v46, -v15
	;; [unrolled: 1-line block ×3, first 2 shown]
	v_fmac_f32_e32 v32, v14, v40
	v_fmac_f32_e32 v35, v16, v46
	v_sub_f32_e32 v7, v27, v7
	v_add_f32_e32 v6, v11, v36
	v_fma_f32 v15, v29, 2.0, -v11
	v_fma_f32 v13, v37, 2.0, -v31
	;; [unrolled: 1-line block ×3, first 2 shown]
	s_waitcnt lgkmcnt(0)
	v_sub_f32_e32 v17, v28, v9
	v_sub_f32_e32 v16, v18, v10
	;; [unrolled: 1-line block ×4, first 2 shown]
	v_fma_f32 v27, v27, 2.0, -v7
	v_fma_f32 v8, v11, 2.0, -v6
	v_sub_f32_e32 v10, v15, v13
	v_sub_f32_e32 v13, v29, v30
	v_fma_f32 v11, v28, 2.0, -v17
	v_fma_f32 v28, v32, 2.0, -v30
	;; [unrolled: 1-line block ×4, first 2 shown]
	v_sub_f32_e32 v9, v27, v14
	v_sub_f32_e32 v26, v30, v26
	v_add_u32_e32 v32, 0x16b, v50
	v_sub_f32_e32 v5, v7, v31
	v_add_f32_e32 v14, v17, v16
	v_fma_f32 v16, v15, 2.0, -v10
	v_fma_f32 v15, v27, 2.0, -v9
	v_sub_f32_e32 v27, v11, v28
	v_fma_f32 v28, v30, 2.0, -v26
	v_mad_u64_u32 v[30:31], s[6:7], s2, v32, 0
	v_fma_f32 v18, v17, 2.0, -v14
	v_fma_f32 v17, v29, 2.0, -v13
	;; [unrolled: 1-line block ×3, first 2 shown]
	v_mov_b32_e32 v11, s15
	v_addc_co_u32_e32 v4, vcc, v11, v4, vcc
	v_add_co_u32_e32 v1, vcc, v3, v1
	v_mov_b32_e32 v11, v31
	v_addc_co_u32_e32 v2, vcc, v4, v2, vcc
	v_lshlrev_b64 v[3:4], 3, v[44:45]
	v_mad_u64_u32 v[31:32], s[6:7], s3, v32, v[11:12]
	v_add_u32_e32 v32, 0x2d6, v50
	v_add_co_u32_e32 v3, vcc, v1, v3
	v_mad_u64_u32 v[35:36], s[6:7], s2, v32, 0
	v_addc_co_u32_e32 v4, vcc, v2, v4, vcc
	global_store_dwordx2 v[3:4], v[15:16], off
	v_lshlrev_b64 v[3:4], 3, v[30:31]
	v_mov_b32_e32 v11, v36
	v_add_co_u32_e32 v3, vcc, v1, v3
	v_fma_f32 v7, v7, 2.0, -v5
	v_mad_u64_u32 v[15:16], s[6:7], s3, v32, v[11:12]
	v_addc_co_u32_e32 v4, vcc, v2, v4, vcc
	v_add_u32_e32 v11, 0x441, v50
	global_store_dwordx2 v[3:4], v[7:8], off
	v_mad_u64_u32 v[7:8], s[6:7], s2, v11, 0
	v_mov_b32_e32 v36, v15
	v_lshlrev_b64 v[3:4], 3, v[35:36]
	v_mad_u64_u32 v[15:16], s[6:7], s3, v11, v[8:9]
	v_add_u32_e32 v11, 0x84, v33
	v_mul_hi_u32 v16, v11, s10
	v_add_co_u32_e32 v3, vcc, v1, v3
	v_addc_co_u32_e32 v4, vcc, v2, v4, vcc
	v_mov_b32_e32 v8, v15
	global_store_dwordx2 v[3:4], v[9:10], off
	v_lshlrev_b64 v[3:4], 3, v[7:8]
	v_sub_u32_e32 v7, v11, v16
	v_lshrrev_b32_e32 v7, 1, v7
	v_add_u32_e32 v7, v7, v16
	v_lshrrev_b32_e32 v7, 8, v7
	v_mul_u32_u24_e32 v8, 0x16b, v7
	v_sub_u32_e32 v8, v11, v8
	v_mad_u32_u24 v11, v7, s5, v8
	v_mad_u64_u32 v[7:8], s[6:7], s2, v11, 0
	v_add_u32_e32 v15, 0x16b, v11
	v_add_co_u32_e32 v3, vcc, v1, v3
	v_mad_u64_u32 v[8:9], s[6:7], s3, v11, v[8:9]
	v_mad_u64_u32 v[9:10], s[6:7], s2, v15, 0
	v_addc_co_u32_e32 v4, vcc, v2, v4, vcc
	global_store_dwordx2 v[3:4], v[5:6], off
	v_mov_b32_e32 v5, v10
	v_mad_u64_u32 v[5:6], s[6:7], s3, v15, v[5:6]
	v_lshlrev_b64 v[3:4], 3, v[7:8]
	v_add_u32_e32 v7, 0x2d6, v11
	v_mov_b32_e32 v10, v5
	v_mad_u64_u32 v[5:6], s[6:7], s2, v7, 0
	v_add_co_u32_e32 v3, vcc, v1, v3
	v_addc_co_u32_e32 v4, vcc, v2, v4, vcc
	global_store_dwordx2 v[3:4], v[28:29], off
	v_lshlrev_b64 v[3:4], 3, v[9:10]
	v_mad_u64_u32 v[6:7], s[6:7], s3, v7, v[6:7]
	v_add_u32_e32 v9, 0x441, v11
	v_mad_u64_u32 v[7:8], s[6:7], s2, v9, 0
	v_add_co_u32_e32 v3, vcc, v1, v3
	v_addc_co_u32_e32 v4, vcc, v2, v4, vcc
	global_store_dwordx2 v[3:4], v[17:18], off
	v_lshlrev_b64 v[3:4], 3, v[5:6]
	v_mov_b32_e32 v5, v8
	v_mad_u64_u32 v[5:6], s[6:7], s3, v9, v[5:6]
	v_add_co_u32_e32 v3, vcc, v1, v3
	v_addc_co_u32_e32 v4, vcc, v2, v4, vcc
	v_mov_b32_e32 v8, v5
	global_store_dwordx2 v[3:4], v[26:27], off
	v_lshlrev_b64 v[3:4], 3, v[7:8]
	v_add_co_u32_e32 v3, vcc, v1, v3
	v_addc_co_u32_e32 v4, vcc, v2, v4, vcc
	global_store_dwordx2 v[3:4], v[13:14], off
	v_add_u32_e32 v3, 0x108, v33
	v_cmp_gt_u32_e32 vcc, s4, v3
	s_and_b64 exec, exec, vcc
	s_cbranch_execz .LBB0_28
; %bb.27:
	v_add_u32_e32 v4, 0xffffff9d, v33
	v_cndmask_b32_e64 v4, v4, v34, s[0:1]
	v_mul_i32_i24_e32 v11, 3, v4
	v_lshlrev_b64 v[4:5], 3, v[11:12]
	v_mov_b32_e32 v6, s9
	v_add_co_u32_e32 v8, vcc, s8, v4
	v_addc_co_u32_e32 v9, vcc, v6, v5, vcc
	global_load_dwordx4 v[4:7], v[8:9], off offset:2816
	global_load_dwordx2 v[10:11], v[8:9], off offset:2832
	v_mad_u64_u32 v[8:9], s[0:1], s2, v3, 0
	v_add_u32_e32 v18, 0x273, v33
	v_add_u32_e32 v29, 0x549, v33
	v_mad_u64_u32 v[12:13], s[0:1], s2, v18, 0
	v_add_u32_e32 v28, 0x3de, v33
	v_mad_u64_u32 v[16:17], s[0:1], s2, v29, 0
	v_mad_u64_u32 v[14:15], s[0:1], s2, v28, 0
	s_waitcnt vmcnt(0)
	v_mad_u64_u32 v[26:27], s[0:1], s3, v3, v[9:10]
	v_mov_b32_e32 v3, v13
	v_mov_b32_e32 v13, v17
	v_mad_u64_u32 v[17:18], s[0:1], s3, v18, v[3:4]
	v_mov_b32_e32 v9, v15
	v_mad_u64_u32 v[27:28], s[0:1], s3, v28, v[9:10]
	v_mov_b32_e32 v9, v26
	v_lshlrev_b64 v[8:9], 3, v[8:9]
	v_mad_u64_u32 v[28:29], s[0:1], s3, v29, v[13:14]
	v_mov_b32_e32 v13, v17
	v_lshlrev_b64 v[12:13], 3, v[12:13]
	v_add_co_u32_e32 v8, vcc, v1, v8
	v_mov_b32_e32 v15, v27
	v_addc_co_u32_e32 v9, vcc, v2, v9, vcc
	v_lshlrev_b64 v[14:15], 3, v[14:15]
	v_add_co_u32_e32 v12, vcc, v1, v12
	v_mov_b32_e32 v17, v28
	v_addc_co_u32_e32 v13, vcc, v2, v13, vcc
	v_lshlrev_b64 v[16:17], 3, v[16:17]
	v_add_co_u32_e32 v14, vcc, v1, v14
	v_addc_co_u32_e32 v15, vcc, v2, v15, vcc
	v_add_co_u32_e32 v1, vcc, v1, v16
	v_addc_co_u32_e32 v2, vcc, v2, v17, vcc
	v_mul_f32_e32 v3, v25, v5
	v_mul_f32_e32 v5, v22, v5
	;; [unrolled: 1-line block ×6, first 2 shown]
	v_fma_f32 v3, v22, v4, -v3
	v_fmac_f32_e32 v5, v25, v4
	v_fma_f32 v4, v20, v6, -v16
	v_fmac_f32_e32 v7, v23, v6
	;; [unrolled: 2-line block ×3, first 2 shown]
	v_sub_f32_e32 v10, v21, v4
	v_sub_f32_e32 v7, v24, v7
	;; [unrolled: 1-line block ×4, first 2 shown]
	v_fma_f32 v16, v21, 2.0, -v10
	v_fma_f32 v17, v24, 2.0, -v7
	;; [unrolled: 1-line block ×4, first 2 shown]
	v_sub_f32_e32 v5, v16, v6
	v_sub_f32_e32 v6, v17, v11
	v_sub_f32_e32 v3, v10, v4
	v_add_f32_e32 v4, v7, v0
	v_fma_f32 v16, v16, 2.0, -v5
	v_fma_f32 v17, v17, 2.0, -v6
	v_fma_f32 v10, v10, 2.0, -v3
	v_fma_f32 v11, v7, 2.0, -v4
	global_store_dwordx2 v[8:9], v[16:17], off
	global_store_dwordx2 v[12:13], v[10:11], off
	;; [unrolled: 1-line block ×4, first 2 shown]
.LBB0_28:
	s_endpgm
	.section	.rodata,"a",@progbits
	.p2align	6, 0x0
	.amdhsa_kernel fft_rtc_fwd_len1452_factors_11_3_11_4_wgs_132_tpt_132_halfLds_sp_op_CI_CI_sbrr_dirReg
		.amdhsa_group_segment_fixed_size 0
		.amdhsa_private_segment_fixed_size 0
		.amdhsa_kernarg_size 104
		.amdhsa_user_sgpr_count 6
		.amdhsa_user_sgpr_private_segment_buffer 1
		.amdhsa_user_sgpr_dispatch_ptr 0
		.amdhsa_user_sgpr_queue_ptr 0
		.amdhsa_user_sgpr_kernarg_segment_ptr 1
		.amdhsa_user_sgpr_dispatch_id 0
		.amdhsa_user_sgpr_flat_scratch_init 0
		.amdhsa_user_sgpr_private_segment_size 0
		.amdhsa_uses_dynamic_stack 0
		.amdhsa_system_sgpr_private_segment_wavefront_offset 0
		.amdhsa_system_sgpr_workgroup_id_x 1
		.amdhsa_system_sgpr_workgroup_id_y 0
		.amdhsa_system_sgpr_workgroup_id_z 0
		.amdhsa_system_sgpr_workgroup_info 0
		.amdhsa_system_vgpr_workitem_id 0
		.amdhsa_next_free_vgpr 67
		.amdhsa_next_free_sgpr 32
		.amdhsa_reserve_vcc 1
		.amdhsa_reserve_flat_scratch 0
		.amdhsa_float_round_mode_32 0
		.amdhsa_float_round_mode_16_64 0
		.amdhsa_float_denorm_mode_32 3
		.amdhsa_float_denorm_mode_16_64 3
		.amdhsa_dx10_clamp 1
		.amdhsa_ieee_mode 1
		.amdhsa_fp16_overflow 0
		.amdhsa_exception_fp_ieee_invalid_op 0
		.amdhsa_exception_fp_denorm_src 0
		.amdhsa_exception_fp_ieee_div_zero 0
		.amdhsa_exception_fp_ieee_overflow 0
		.amdhsa_exception_fp_ieee_underflow 0
		.amdhsa_exception_fp_ieee_inexact 0
		.amdhsa_exception_int_div_zero 0
	.end_amdhsa_kernel
	.text
.Lfunc_end0:
	.size	fft_rtc_fwd_len1452_factors_11_3_11_4_wgs_132_tpt_132_halfLds_sp_op_CI_CI_sbrr_dirReg, .Lfunc_end0-fft_rtc_fwd_len1452_factors_11_3_11_4_wgs_132_tpt_132_halfLds_sp_op_CI_CI_sbrr_dirReg
                                        ; -- End function
	.section	.AMDGPU.csdata,"",@progbits
; Kernel info:
; codeLenInByte = 9552
; NumSgprs: 36
; NumVgprs: 67
; ScratchSize: 0
; MemoryBound: 0
; FloatMode: 240
; IeeeMode: 1
; LDSByteSize: 0 bytes/workgroup (compile time only)
; SGPRBlocks: 4
; VGPRBlocks: 16
; NumSGPRsForWavesPerEU: 36
; NumVGPRsForWavesPerEU: 67
; Occupancy: 3
; WaveLimiterHint : 1
; COMPUTE_PGM_RSRC2:SCRATCH_EN: 0
; COMPUTE_PGM_RSRC2:USER_SGPR: 6
; COMPUTE_PGM_RSRC2:TRAP_HANDLER: 0
; COMPUTE_PGM_RSRC2:TGID_X_EN: 1
; COMPUTE_PGM_RSRC2:TGID_Y_EN: 0
; COMPUTE_PGM_RSRC2:TGID_Z_EN: 0
; COMPUTE_PGM_RSRC2:TIDIG_COMP_CNT: 0
	.type	__hip_cuid_f1273f3bd72ae3ef,@object ; @__hip_cuid_f1273f3bd72ae3ef
	.section	.bss,"aw",@nobits
	.globl	__hip_cuid_f1273f3bd72ae3ef
__hip_cuid_f1273f3bd72ae3ef:
	.byte	0                               ; 0x0
	.size	__hip_cuid_f1273f3bd72ae3ef, 1

	.ident	"AMD clang version 19.0.0git (https://github.com/RadeonOpenCompute/llvm-project roc-6.4.0 25133 c7fe45cf4b819c5991fe208aaa96edf142730f1d)"
	.section	".note.GNU-stack","",@progbits
	.addrsig
	.addrsig_sym __hip_cuid_f1273f3bd72ae3ef
	.amdgpu_metadata
---
amdhsa.kernels:
  - .args:
      - .actual_access:  read_only
        .address_space:  global
        .offset:         0
        .size:           8
        .value_kind:     global_buffer
      - .offset:         8
        .size:           8
        .value_kind:     by_value
      - .actual_access:  read_only
        .address_space:  global
        .offset:         16
        .size:           8
        .value_kind:     global_buffer
      - .actual_access:  read_only
        .address_space:  global
        .offset:         24
        .size:           8
        .value_kind:     global_buffer
      - .actual_access:  read_only
        .address_space:  global
        .offset:         32
        .size:           8
        .value_kind:     global_buffer
      - .offset:         40
        .size:           8
        .value_kind:     by_value
      - .actual_access:  read_only
        .address_space:  global
        .offset:         48
        .size:           8
        .value_kind:     global_buffer
      - .actual_access:  read_only
        .address_space:  global
        .offset:         56
        .size:           8
        .value_kind:     global_buffer
      - .offset:         64
        .size:           4
        .value_kind:     by_value
      - .actual_access:  read_only
        .address_space:  global
        .offset:         72
        .size:           8
        .value_kind:     global_buffer
      - .actual_access:  read_only
        .address_space:  global
        .offset:         80
        .size:           8
        .value_kind:     global_buffer
      - .actual_access:  read_only
        .address_space:  global
        .offset:         88
        .size:           8
        .value_kind:     global_buffer
      - .actual_access:  write_only
        .address_space:  global
        .offset:         96
        .size:           8
        .value_kind:     global_buffer
    .group_segment_fixed_size: 0
    .kernarg_segment_align: 8
    .kernarg_segment_size: 104
    .language:       OpenCL C
    .language_version:
      - 2
      - 0
    .max_flat_workgroup_size: 132
    .name:           fft_rtc_fwd_len1452_factors_11_3_11_4_wgs_132_tpt_132_halfLds_sp_op_CI_CI_sbrr_dirReg
    .private_segment_fixed_size: 0
    .sgpr_count:     36
    .sgpr_spill_count: 0
    .symbol:         fft_rtc_fwd_len1452_factors_11_3_11_4_wgs_132_tpt_132_halfLds_sp_op_CI_CI_sbrr_dirReg.kd
    .uniform_work_group_size: 1
    .uses_dynamic_stack: false
    .vgpr_count:     67
    .vgpr_spill_count: 0
    .wavefront_size: 64
amdhsa.target:   amdgcn-amd-amdhsa--gfx906
amdhsa.version:
  - 1
  - 2
...

	.end_amdgpu_metadata
